;; amdgpu-corpus repo=ROCm/rocFFT kind=compiled arch=gfx950 opt=O3
	.text
	.amdgcn_target "amdgcn-amd-amdhsa--gfx950"
	.amdhsa_code_object_version 6
	.protected	fft_rtc_back_len270_factors_10_3_3_3_wgs_108_tpt_27_halfLds_sp_ip_CI_unitstride_sbrr_dirReg ; -- Begin function fft_rtc_back_len270_factors_10_3_3_3_wgs_108_tpt_27_halfLds_sp_ip_CI_unitstride_sbrr_dirReg
	.globl	fft_rtc_back_len270_factors_10_3_3_3_wgs_108_tpt_27_halfLds_sp_ip_CI_unitstride_sbrr_dirReg
	.p2align	8
	.type	fft_rtc_back_len270_factors_10_3_3_3_wgs_108_tpt_27_halfLds_sp_ip_CI_unitstride_sbrr_dirReg,@function
fft_rtc_back_len270_factors_10_3_3_3_wgs_108_tpt_27_halfLds_sp_ip_CI_unitstride_sbrr_dirReg: ; @fft_rtc_back_len270_factors_10_3_3_3_wgs_108_tpt_27_halfLds_sp_ip_CI_unitstride_sbrr_dirReg
; %bb.0:
	s_load_dwordx2 s[4:5], s[0:1], 0x50
	s_load_dwordx4 s[8:11], s[0:1], 0x0
	s_load_dwordx2 s[6:7], s[0:1], 0x18
	v_mul_u32_u24_e32 v1, 0x97c, v0
	v_lshrrev_b32_e32 v16, 16, v1
	v_lshl_add_u32 v6, s2, 2, v16
	v_mov_b32_e32 v4, 0
	s_waitcnt lgkmcnt(0)
	v_cmp_lt_u64_e64 s[2:3], s[10:11], 2
	v_mov_b32_e32 v7, v4
	s_and_b64 vcc, exec, s[2:3]
	v_mov_b64_e32 v[2:3], 0
	s_cbranch_vccnz .LBB0_8
; %bb.1:
	s_load_dwordx2 s[2:3], s[0:1], 0x10
	s_add_u32 s12, s6, 8
	s_addc_u32 s13, s7, 0
	s_mov_b64 s[14:15], 1
	v_mov_b64_e32 v[2:3], 0
	s_waitcnt lgkmcnt(0)
	s_add_u32 s16, s2, 8
	s_addc_u32 s17, s3, 0
.LBB0_2:                                ; =>This Inner Loop Header: Depth=1
	s_load_dwordx2 s[18:19], s[16:17], 0x0
                                        ; implicit-def: $vgpr8_vgpr9
	s_waitcnt lgkmcnt(0)
	v_or_b32_e32 v5, s19, v7
	v_cmp_ne_u64_e32 vcc, 0, v[4:5]
	s_and_saveexec_b64 s[2:3], vcc
	s_xor_b64 s[20:21], exec, s[2:3]
	s_cbranch_execz .LBB0_4
; %bb.3:                                ;   in Loop: Header=BB0_2 Depth=1
	v_cvt_f32_u32_e32 v1, s18
	v_cvt_f32_u32_e32 v5, s19
	s_sub_u32 s2, 0, s18
	s_subb_u32 s3, 0, s19
	v_fmac_f32_e32 v1, 0x4f800000, v5
	v_rcp_f32_e32 v1, v1
	s_nop 0
	v_mul_f32_e32 v1, 0x5f7ffffc, v1
	v_mul_f32_e32 v5, 0x2f800000, v1
	v_trunc_f32_e32 v5, v5
	v_fmac_f32_e32 v1, 0xcf800000, v5
	v_cvt_u32_f32_e32 v5, v5
	v_cvt_u32_f32_e32 v1, v1
	v_mul_lo_u32 v8, s2, v5
	v_mul_hi_u32 v10, s2, v1
	v_mul_lo_u32 v9, s3, v1
	v_add_u32_e32 v10, v10, v8
	v_mul_lo_u32 v12, s2, v1
	v_add_u32_e32 v13, v10, v9
	v_mul_hi_u32 v8, v1, v12
	v_mul_hi_u32 v11, v1, v13
	v_mul_lo_u32 v10, v1, v13
	v_mov_b32_e32 v9, v4
	v_lshl_add_u64 v[8:9], v[8:9], 0, v[10:11]
	v_mul_hi_u32 v11, v5, v12
	v_mul_lo_u32 v12, v5, v12
	v_add_co_u32_e32 v8, vcc, v8, v12
	v_mul_hi_u32 v10, v5, v13
	s_nop 0
	v_addc_co_u32_e32 v8, vcc, v9, v11, vcc
	v_mov_b32_e32 v9, v4
	s_nop 0
	v_addc_co_u32_e32 v11, vcc, 0, v10, vcc
	v_mul_lo_u32 v10, v5, v13
	v_lshl_add_u64 v[8:9], v[8:9], 0, v[10:11]
	v_add_co_u32_e32 v1, vcc, v1, v8
	v_mul_lo_u32 v10, s2, v1
	s_nop 0
	v_addc_co_u32_e32 v5, vcc, v5, v9, vcc
	v_mul_lo_u32 v8, s2, v5
	v_mul_hi_u32 v9, s2, v1
	v_add_u32_e32 v8, v9, v8
	v_mul_lo_u32 v9, s3, v1
	v_add_u32_e32 v12, v8, v9
	v_mul_hi_u32 v14, v5, v10
	v_mul_lo_u32 v15, v5, v10
	v_mul_hi_u32 v9, v1, v12
	v_mul_lo_u32 v8, v1, v12
	v_mul_hi_u32 v10, v1, v10
	v_mov_b32_e32 v11, v4
	v_lshl_add_u64 v[8:9], v[10:11], 0, v[8:9]
	v_add_co_u32_e32 v8, vcc, v8, v15
	v_mul_hi_u32 v13, v5, v12
	s_nop 0
	v_addc_co_u32_e32 v8, vcc, v9, v14, vcc
	v_mul_lo_u32 v10, v5, v12
	s_nop 0
	v_addc_co_u32_e32 v11, vcc, 0, v13, vcc
	v_mov_b32_e32 v9, v4
	v_lshl_add_u64 v[8:9], v[8:9], 0, v[10:11]
	v_add_co_u32_e32 v1, vcc, v1, v8
	v_mul_hi_u32 v10, v6, v1
	s_nop 0
	v_addc_co_u32_e32 v5, vcc, v5, v9, vcc
	v_mad_u64_u32 v[8:9], s[2:3], v6, v5, 0
	v_mov_b32_e32 v11, v4
	v_lshl_add_u64 v[8:9], v[10:11], 0, v[8:9]
	v_mad_u64_u32 v[12:13], s[2:3], v7, v1, 0
	v_add_co_u32_e32 v1, vcc, v8, v12
	v_mad_u64_u32 v[10:11], s[2:3], v7, v5, 0
	s_nop 0
	v_addc_co_u32_e32 v8, vcc, v9, v13, vcc
	v_mov_b32_e32 v9, v4
	s_nop 0
	v_addc_co_u32_e32 v11, vcc, 0, v11, vcc
	v_lshl_add_u64 v[8:9], v[8:9], 0, v[10:11]
	v_mul_lo_u32 v1, s19, v8
	v_mul_lo_u32 v5, s18, v9
	v_mad_u64_u32 v[10:11], s[2:3], s18, v8, 0
	v_add3_u32 v1, v11, v5, v1
	v_sub_u32_e32 v5, v7, v1
	v_mov_b32_e32 v11, s19
	v_sub_co_u32_e32 v14, vcc, v6, v10
	v_lshl_add_u64 v[12:13], v[8:9], 0, 1
	s_nop 0
	v_subb_co_u32_e64 v5, s[2:3], v5, v11, vcc
	v_subrev_co_u32_e64 v10, s[2:3], s18, v14
	v_subb_co_u32_e32 v1, vcc, v7, v1, vcc
	s_nop 0
	v_subbrev_co_u32_e64 v5, s[2:3], 0, v5, s[2:3]
	v_cmp_le_u32_e64 s[2:3], s19, v5
	v_cmp_le_u32_e32 vcc, s19, v1
	s_nop 0
	v_cndmask_b32_e64 v11, 0, -1, s[2:3]
	v_cmp_le_u32_e64 s[2:3], s18, v10
	s_nop 1
	v_cndmask_b32_e64 v10, 0, -1, s[2:3]
	v_cmp_eq_u32_e64 s[2:3], s19, v5
	s_nop 1
	v_cndmask_b32_e64 v5, v11, v10, s[2:3]
	v_lshl_add_u64 v[10:11], v[8:9], 0, 2
	v_cmp_ne_u32_e64 s[2:3], 0, v5
	s_nop 1
	v_cndmask_b32_e64 v5, v13, v11, s[2:3]
	v_cndmask_b32_e64 v11, 0, -1, vcc
	v_cmp_le_u32_e32 vcc, s18, v14
	s_nop 1
	v_cndmask_b32_e64 v13, 0, -1, vcc
	v_cmp_eq_u32_e32 vcc, s19, v1
	s_nop 1
	v_cndmask_b32_e32 v1, v11, v13, vcc
	v_cmp_ne_u32_e32 vcc, 0, v1
	v_cndmask_b32_e64 v1, v12, v10, s[2:3]
	s_nop 0
	v_cndmask_b32_e32 v9, v9, v5, vcc
	v_cndmask_b32_e32 v8, v8, v1, vcc
.LBB0_4:                                ;   in Loop: Header=BB0_2 Depth=1
	s_andn2_saveexec_b64 s[2:3], s[20:21]
	s_cbranch_execz .LBB0_6
; %bb.5:                                ;   in Loop: Header=BB0_2 Depth=1
	v_cvt_f32_u32_e32 v1, s18
	s_sub_i32 s20, 0, s18
	v_rcp_iflag_f32_e32 v1, v1
	s_nop 0
	v_mul_f32_e32 v1, 0x4f7ffffe, v1
	v_cvt_u32_f32_e32 v1, v1
	v_mul_lo_u32 v5, s20, v1
	v_mul_hi_u32 v5, v1, v5
	v_add_u32_e32 v1, v1, v5
	v_mul_hi_u32 v1, v6, v1
	v_mul_lo_u32 v5, v1, s18
	v_sub_u32_e32 v5, v6, v5
	v_add_u32_e32 v8, 1, v1
	v_subrev_u32_e32 v9, s18, v5
	v_cmp_le_u32_e32 vcc, s18, v5
	s_nop 1
	v_cndmask_b32_e32 v5, v5, v9, vcc
	v_cndmask_b32_e32 v1, v1, v8, vcc
	v_add_u32_e32 v8, 1, v1
	v_cmp_le_u32_e32 vcc, s18, v5
	v_mov_b32_e32 v9, v4
	s_nop 0
	v_cndmask_b32_e32 v8, v1, v8, vcc
.LBB0_6:                                ;   in Loop: Header=BB0_2 Depth=1
	s_or_b64 exec, exec, s[2:3]
	v_mad_u64_u32 v[10:11], s[2:3], v8, s18, 0
	s_load_dwordx2 s[2:3], s[12:13], 0x0
	v_mul_lo_u32 v1, v9, s18
	v_mul_lo_u32 v5, v8, s19
	v_add3_u32 v1, v11, v5, v1
	v_sub_co_u32_e32 v5, vcc, v6, v10
	s_add_u32 s14, s14, 1
	s_nop 0
	v_subb_co_u32_e32 v1, vcc, v7, v1, vcc
	s_addc_u32 s15, s15, 0
	s_waitcnt lgkmcnt(0)
	v_mul_lo_u32 v1, s2, v1
	v_mul_lo_u32 v6, s3, v5
	v_mad_u64_u32 v[2:3], s[2:3], s2, v5, v[2:3]
	s_add_u32 s12, s12, 8
	v_add3_u32 v3, v6, v3, v1
	s_addc_u32 s13, s13, 0
	v_mov_b64_e32 v[6:7], s[10:11]
	s_add_u32 s16, s16, 8
	v_cmp_ge_u64_e32 vcc, s[14:15], v[6:7]
	s_addc_u32 s17, s17, 0
	s_cbranch_vccnz .LBB0_9
; %bb.7:                                ;   in Loop: Header=BB0_2 Depth=1
	v_mov_b64_e32 v[6:7], v[8:9]
	s_branch .LBB0_2
.LBB0_8:
	v_mov_b64_e32 v[8:9], v[6:7]
.LBB0_9:
	s_lshl_b64 s[2:3], s[10:11], 3
	s_add_u32 s2, s6, s2
	s_addc_u32 s3, s7, s3
	s_load_dwordx2 s[6:7], s[2:3], 0x0
	s_load_dwordx2 s[10:11], s[0:1], 0x20
                                        ; implicit-def: $vgpr17
                                        ; implicit-def: $vgpr10
                                        ; implicit-def: $vgpr24
                                        ; implicit-def: $vgpr14
                                        ; implicit-def: $vgpr6
                                        ; implicit-def: $vgpr20
                                        ; implicit-def: $vgpr18
                                        ; implicit-def: $vgpr22
                                        ; implicit-def: $vgpr12
	s_waitcnt lgkmcnt(0)
	v_mad_u64_u32 v[2:3], s[0:1], s6, v8, v[2:3]
	v_mul_lo_u32 v1, s6, v9
	v_mul_lo_u32 v4, s7, v8
	s_mov_b32 s0, 0x97b425f
	v_add3_u32 v3, v4, v3, v1
	v_mul_hi_u32 v1, v0, s0
	v_mul_u32_u24_e32 v1, 27, v1
	v_cmp_gt_u64_e32 vcc, s[10:11], v[8:9]
	v_sub_u32_e32 v0, v0, v1
	v_lshl_add_u64 v[2:3], v[2:3], 3, s[4:5]
                                        ; implicit-def: $vgpr8
                                        ; implicit-def: $vgpr4
	s_and_saveexec_b64 s[0:1], vcc
	s_cbranch_execz .LBB0_11
; %bb.10:
	v_mov_b32_e32 v1, 0
	v_lshl_add_u64 v[24:25], v[0:1], 3, v[2:3]
	global_load_dwordx2 v[10:11], v[24:25], off
	global_load_dwordx2 v[26:27], v[24:25], off offset:648
	global_load_dwordx2 v[22:23], v[24:25], off offset:864
	;; [unrolled: 1-line block ×9, first 2 shown]
	s_waitcnt vmcnt(9)
	v_mov_b32_e32 v25, v11
	s_waitcnt vmcnt(8)
	v_mov_b32_e32 v17, v26
	v_mov_b32_e32 v24, v27
.LBB0_11:
	s_or_b64 exec, exec, s[0:1]
	v_and_b32_e32 v1, 3, v16
	v_mul_u32_u24_e32 v50, 0x10e, v1
	s_waitcnt vmcnt(6)
	v_add_f32_e32 v1, v12, v10
	v_mov_b32_e32 v32, v13
	v_mov_b32_e32 v33, v23
	s_waitcnt vmcnt(1)
	v_mov_b32_e32 v34, v5
	v_mov_b32_e32 v35, v19
	s_mov_b32 s4, 0x3f167918
	v_add_f32_e32 v1, v22, v1
	v_pk_add_f32 v[36:37], v[4:5], v[12:13]
	v_pk_add_f32 v[32:33], v[32:33], v[34:35] neg_lo:[0,1] neg_hi:[0,1]
	s_mov_b32 s5, 0x3f737871
	v_add_f32_e32 v26, v18, v1
	v_fma_f32 v1, -0.5, v36, v10
	v_pk_mul_f32 v[40:41], v[32:33], s[4:5]
	v_mov_b32_e32 v42, v18
	v_mov_b32_e32 v43, v22
	;; [unrolled: 1-line block ×4, first 2 shown]
	v_add_f32_e32 v11, v41, v1
	v_pk_add_f32 v[42:43], v[42:43], v[44:45] neg_lo:[0,1] neg_hi:[0,1]
	v_sub_f32_e32 v52, v11, v40
	v_add_f32_e32 v11, v42, v43
	v_sub_f32_e32 v1, v1, v41
	v_mul_f32_e32 v36, 0x3e9e377a, v11
	v_add_f32_e32 v53, v40, v1
	v_pk_add_f32 v[40:41], v[8:9], v[6:7]
	v_mov_b32_e32 v27, v20
	v_mov_b32_e32 v11, v21
	v_fmac_f32_e32 v27, -0.5, v40
	v_fmac_f32_e32 v11, -0.5, v41
	s_waitcnt vmcnt(0)
	v_mov_b32_e32 v40, v15
	v_mov_b32_e32 v41, v24
	;; [unrolled: 1-line block ×4, first 2 shown]
	v_add_f32_e32 v1, v17, v20
	v_mov_b32_e32 v16, v14
	v_mov_b32_e32 v42, v8
	;; [unrolled: 1-line block ×3, first 2 shown]
	v_pk_add_f32 v[40:41], v[40:41], v[46:47] neg_lo:[0,1] neg_hi:[0,1]
	v_add_f32_e32 v54, v6, v1
	v_pk_add_f32 v[42:43], v[16:17], v[42:43] neg_lo:[0,1] neg_hi:[0,1]
	v_mov_b32_e32 v1, v40
	v_mov_b32_e32 v16, v17
	;; [unrolled: 1-line block ×3, first 2 shown]
	v_pk_add_f32 v[44:45], v[6:7], v[8:9] neg_lo:[0,1] neg_hi:[0,1]
	v_pk_add_f32 v[46:47], v[0:1], v[40:41]
	v_pk_add_f32 v[40:41], v[16:17], v[14:15] neg_lo:[0,1] neg_hi:[0,1]
	v_mov_b32_e32 v56, v45
	v_mov_b32_e32 v57, v41
	v_pk_mul_f32 v[56:57], v[56:57], s[4:5]
	v_pk_add_f32 v[30:31], v[4:5], v[18:19] neg_lo:[0,1] neg_hi:[0,1]
	v_sub_f32_e32 v1, v27, v57
	v_sub_f32_e32 v49, v1, v56
	v_add_f32_e32 v1, v57, v27
	v_pk_add_f32 v[28:29], v[12:13], v[22:23] neg_lo:[0,1] neg_hi:[0,1]
	v_add_f32_e32 v31, v56, v1
	v_pk_add_f32 v[56:57], v[14:15], v[16:17]
	s_mov_b32 s0, s5
	v_add_f32_e32 v29, v42, v43
	v_pk_add_f32 v[42:43], v[8:9], v[14:15] neg_lo:[0,1] neg_hi:[0,1]
	v_pk_fma_f32 v[56:57], -0.5, v[56:57], v[20:21] op_sel_hi:[0,1,1]
	v_pk_mul_f32 v[58:59], v[44:45], s[0:1] op_sel_hi:[1,0]
	v_pk_add_f32 v[16:17], v[6:7], v[16:17] neg_lo:[0,1] neg_hi:[0,1]
	s_mov_b32 s7, 0x3e9e377a
	v_pk_add_f32 v[16:17], v[42:43], v[16:17]
	v_pk_add_f32 v[42:43], v[56:57], v[58:59] op_sel:[0,1] op_sel_hi:[1,0] neg_lo:[0,1] neg_hi:[0,1]
	v_pk_add_f32 v[56:57], v[58:59], v[56:57] op_sel:[1,0] op_sel_hi:[0,1]
	v_pk_mul_f32 v[60:61], v[40:41], s[4:5] op_sel_hi:[1,0]
	v_pk_add_f32 v[38:39], v[18:19], v[22:23]
	v_fmamk_f32 v1, v40, 0x3f737871, v11
	v_fmac_f32_e32 v11, 0xbf737871, v40
	v_pk_add_f32 v[40:41], v[60:61], v[42:43] op_sel:[1,0] op_sel_hi:[0,1]
	s_mov_b32 s2, s7
	v_pk_add_f32 v[42:43], v[56:57], v[60:61] op_sel:[0,1] op_sel_hi:[1,0] neg_lo:[0,1] neg_hi:[0,1]
	v_pk_fma_f32 v[40:41], v[16:17], s[2:3], v[40:41] op_sel_hi:[1,0,1]
	v_pk_fma_f32 v[42:43], v[16:17], s[2:3], v[42:43] op_sel_hi:[1,0,1]
	v_mov_b32_e32 v16, v38
	v_mov_b32_e32 v17, v44
	s_mov_b32 s2, 0.5
	s_mov_b32 s3, s4
	v_mul_f32_e32 v34, 0x3f167918, v33
	v_mul_f32_e32 v59, 0x3e9e377a, v29
	v_pk_mul_f32 v[56:57], v[16:17], s[2:3]
	v_mov_b32_e32 v33, v47
	s_mov_b32 s6, s5
	v_pk_fma_f32 v[10:11], v[16:17], s[2:3], v[10:11] neg_lo:[1,0,0] neg_hi:[1,0,0]
	v_pk_mul_f32 v[46:47], v[32:33], s[6:7]
	v_pk_fma_f32 v[16:17], v[32:33], s[6:7], v[10:11] neg_lo:[1,0,0] neg_hi:[1,0,0]
	v_mov_b32_e32 v29, v59
	v_add_f32_e32 v1, v57, v1
	v_add_f32_e32 v48, v13, v25
	v_mov_b32_e32 v58, v23
	v_pk_add_f32 v[44:45], v[30:31], v[28:29]
	s_mov_b32 s3, 0xbf4f1bbd
	s_mov_b32 s2, s7
	v_add_f32_e32 v51, v47, v1
	v_mov_b32_e32 v1, v16
	v_mov_b32_e32 v16, v8
	;; [unrolled: 1-line block ×3, first 2 shown]
	v_pk_mul_f32 v[28:29], v[44:45], s[2:3]
	v_pk_fma_f32 v[46:47], v[32:33], s[6:7], v[10:11]
	v_mov_b32_e32 v35, 0x3f167918
	v_pk_add_f32 v[48:49], v[58:59], v[48:49]
	v_pk_add_f32 v[54:55], v[54:55], v[8:9]
	v_pk_add_f32 v[16:17], v[0:1], v[16:17] neg_lo:[0,1] neg_hi:[0,1]
	v_mul_f32_e32 v11, 0x3f167918, v51
	s_mov_b32 s1, s4
	v_pk_add_f32 v[30:31], v[46:47], v[34:35]
	v_mul_f32_e32 v27, 0x3f4f1bbd, v49
	v_mov_b32_e32 v55, v17
	v_mov_b32_e32 v16, v14
	;; [unrolled: 1-line block ×6, first 2 shown]
	v_pk_fma_f32 v[30:31], v[44:45], s[2:3], v[30:31]
	v_pk_fma_f32 v[32:33], v[46:47], s[0:1], v[28:29] neg_lo:[1,0,0] neg_hi:[1,0,0]
	v_pk_add_f32 v[16:17], v[16:17], v[54:55]
	v_pk_add_f32 v[28:29], v[26:27], v[4:5]
	v_pk_add_f32 v[10:11], v[26:27], v[10:11] neg_lo:[0,1] neg_hi:[0,1]
	v_mov_b32_e32 v54, v42
	v_mov_b32_e32 v55, v40
	s_mov_b32 s3, 0xbe9e377a
	v_pk_mul_f32 v[56:57], v[56:57], s[0:1] op_sel_hi:[1,0]
	v_lshl_add_u32 v20, v50, 2, 0
	v_mov_b32_e32 v29, v11
	v_pk_add_f32 v[52:53], v[36:37], v[52:53] op_sel_hi:[0,1]
	v_pk_fma_f32 v[54:55], v[54:55], s[2:3], v[56:57] neg_lo:[0,0,1] neg_hi:[0,0,1]
	v_mad_u32_u24 v6, v0, 40, v20
	v_pk_add_f32 v[26:27], v[16:17], v[28:29]
	v_pk_add_f32 v[56:57], v[52:53], v[54:55]
	ds_write2_b64 v6, v[26:27], v[56:57] offset1:1
	v_mov_b32_e32 v1, v28
	v_mov_b32_e32 v26, v33
	;; [unrolled: 1-line block ×3, first 2 shown]
	v_pk_add_f32 v[28:29], v[30:31], v[26:27]
	v_pk_add_f32 v[26:27], v[0:1], v[26:27] neg_lo:[0,1] neg_hi:[0,1]
	v_mov_b32_e32 v16, v17
	v_mov_b32_e32 v17, v52
	;; [unrolled: 1-line block ×4, first 2 shown]
	v_pk_add_f32 v[10:11], v[16:17], v[10:11] neg_lo:[0,1] neg_hi:[0,1]
	v_mov_b32_e32 v29, v27
	ds_write2_b64 v6, v[28:29], v[10:11] offset0:2 offset1:3
	v_mov_b32_e32 v10, v53
	v_mov_b32_e32 v11, v30
	;; [unrolled: 1-line block ×3, first 2 shown]
	s_movk_i32 s0, 0xffdc
	v_pk_add_f32 v[10:11], v[10:11], v[32:33] neg_lo:[0,1] neg_hi:[0,1]
	v_lshl_add_u32 v36, v0, 2, v20
	v_mad_i32_i24 v1, v0, s0, v6
	ds_write_b64 v6, v[10:11] offset:32
	s_waitcnt lgkmcnt(0)
	s_barrier
	ds_read_b32 v20, v36
	ds_read2_b32 v[32:33], v1 offset0:90 offset1:117
	ds_read2_b32 v[26:27], v1 offset0:144 offset1:180
	;; [unrolled: 1-line block ×4, first 2 shown]
	v_mov_b32_e32 v8, v25
	v_cmp_lt_u32_e64 s[2:3], 8, v0
	v_cmp_gt_u32_e64 s[0:1], 9, v0
                                        ; implicit-def: $vgpr38
                                        ; implicit-def: $vgpr31
	s_and_saveexec_b64 s[10:11], s[0:1]
	s_cbranch_execz .LBB0_13
; %bb.12:
	ds_read2_b32 v[30:31], v1 offset0:81 offset1:171
	ds_read_b32 v38, v1 offset:1044
	s_waitcnt lgkmcnt(1)
	v_mov_b32_e32 v11, v30
.LBB0_13:
	s_or_b64 exec, exec, s[10:11]
	v_pk_add_f32 v[54:55], v[22:23], v[18:19] neg_lo:[0,1] neg_hi:[0,1]
	v_mov_b32_e32 v56, v5
	v_mov_b32_e32 v57, v13
	;; [unrolled: 1-line block ×3, first 2 shown]
	v_pk_add_f32 v[58:59], v[56:57], v[22:23] neg_lo:[0,1] neg_hi:[0,1]
	v_mul_f32_e32 v53, 0.5, v39
	v_mov_b32_e32 v10, v59
	v_pk_add_f32 v[22:23], v[22:23], v[56:57] neg_lo:[0,1] neg_hi:[0,1]
	v_mov_b32_e32 v52, v21
	v_pk_add_f32 v[58:59], v[58:59], v[10:11]
	v_mul_f32_e32 v14, 0.5, v37
	v_add_f32_e32 v10, v22, v23
	v_pk_add_f32 v[22:23], v[24:25], v[52:53]
	v_pk_add_f32 v[24:25], v[24:25], v[52:53] neg_lo:[0,1] neg_hi:[0,1]
	v_mov_b32_e32 v52, v9
	v_mov_b32_e32 v56, v15
	;; [unrolled: 1-line block ×4, first 2 shown]
	s_mov_b32 s5, s4
	v_pk_add_f32 v[8:9], v[8:9], v[14:15] neg_lo:[0,1] neg_hi:[0,1]
	v_mov_b32_e32 v59, v54
	s_mov_b32 s10, s7
	s_mov_b32 s11, s4
	v_mul_f32_e32 v34, 0x3f737871, v54
	v_fmamk_f32 v15, v54, 0xbf737871, v8
	v_pk_mul_f32 v[54:55], v[8:9], s[4:5]
	v_pk_mul_f32 v[58:59], v[58:59], s[10:11]
	v_mov_b32_e32 v23, v25
	v_mov_b32_e32 v18, v19
	v_mul_f32_e32 v13, 0x3f737871, v9
	v_mov_b32_e32 v14, v55
	v_mul_f32_e32 v19, 0x3f4f1bbd, v51
	v_mov_b32_e32 v12, v7
	v_mov_b32_e32 v53, v59
	v_pk_add_f32 v[60:61], v[8:9], v[34:35]
	v_pk_fma_f32 v[34:35], v[8:9], v[34:35], v[14:15]
	v_fmac_f32_e32 v25, 0xbf737871, v9
	v_pk_add_f32 v[8:9], v[12:13], v[22:23]
	v_pk_add_f32 v[12:13], v[18:19], v[48:49]
	v_pk_mul_f32 v[22:23], v[48:49], s[4:5]
	v_mov_b32_e32 v57, v58
	v_pk_add_f32 v[14:15], v[60:61], v[14:15] neg_lo:[0,1] neg_hi:[0,1]
	v_pk_add_f32 v[8:9], v[52:53], v[8:9]
	v_mov_b32_e32 v13, v23
	v_mov_b32_e32 v18, v5
	v_pk_mul_f32 v[22:23], v[42:43], s[6:7]
	v_mul_f32_e32 v10, 0x3e9e377a, v10
	v_mov_b32_e32 v15, v35
	v_sub_f32_e32 v4, v25, v59
	v_pk_add_f32 v[8:9], v[56:57], v[8:9]
	v_pk_add_f32 v[12:13], v[18:19], v[12:13]
	v_pk_fma_f32 v[24:25], v[40:41], s[6:7], v[22:23] op_sel:[0,0,1] op_sel_hi:[1,1,0]
	v_pk_fma_f32 v[22:23], v[40:41], s[6:7], v[22:23] op_sel:[0,0,1] op_sel_hi:[1,1,0] neg_lo:[0,0,1] neg_hi:[0,0,1]
	v_mul_f32_e32 v5, 0x3f4f1bbd, v47
	v_pk_add_f32 v[14:15], v[10:11], v[14:15] op_sel_hi:[0,1]
	v_add_f32_e32 v4, v58, v4
	v_mov_b32_e32 v23, v25
	v_fma_f32 v40, v45, s4, -v5
	v_mov_b32_e32 v5, v12
	v_mov_b32_e32 v41, v8
	v_pk_add_f32 v[18:19], v[8:9], v[12:13]
	v_pk_add_f32 v[34:35], v[14:15], v[22:23]
	;; [unrolled: 1-line block ×3, first 2 shown]
	v_pk_add_f32 v[44:45], v[4:5], v[40:41] neg_lo:[0,1] neg_hi:[0,1]
	v_mov_b32_e32 v8, v9
	v_mov_b32_e32 v9, v15
	;; [unrolled: 1-line block ×3, first 2 shown]
	v_pk_add_f32 v[12:13], v[8:9], v[24:25] neg_lo:[0,1] neg_hi:[0,1]
	v_mov_b32_e32 v15, v4
	v_mov_b32_e32 v23, v40
	;; [unrolled: 1-line block ×5, first 2 shown]
	v_pk_add_f32 v[8:9], v[14:15], v[22:23] neg_lo:[0,1] neg_hi:[0,1]
	s_waitcnt lgkmcnt(0)
	s_barrier
	ds_write2_b64 v6, v[18:19], v[4:5] offset1:1
	ds_write2_b64 v6, v[42:43], v[12:13] offset0:2 offset1:3
	ds_write_b64 v6, v[8:9] offset:32
	s_waitcnt lgkmcnt(0)
	s_barrier
	ds_read_b32 v10, v36
	ds_read2_b32 v[12:13], v1 offset0:90 offset1:117
	ds_read2_b32 v[4:5], v1 offset0:144 offset1:180
	;; [unrolled: 1-line block ×4, first 2 shown]
                                        ; implicit-def: $vgpr21
                                        ; implicit-def: $vgpr19
	s_and_saveexec_b64 s[4:5], s[0:1]
	s_cbranch_execz .LBB0_15
; %bb.14:
	ds_read2_b32 v[18:19], v1 offset0:81 offset1:171
	ds_read_b32 v21, v1 offset:1044
	s_waitcnt lgkmcnt(1)
	v_mov_b32_e32 v9, v18
.LBB0_15:
	s_or_b64 exec, exec, s[4:5]
	s_movk_i32 s4, 0xcd
	v_add_u32_e32 v37, 27, v0
	v_mul_lo_u16_sdwa v8, v0, s4 dst_sel:DWORD dst_unused:UNUSED_PAD src0_sel:BYTE_0 src1_sel:DWORD
	v_lshrrev_b16_e32 v51, 11, v8
	v_mul_lo_u16_sdwa v22, v37, s4 dst_sel:DWORD dst_unused:UNUSED_PAD src0_sel:BYTE_0 src1_sel:DWORD
	v_mul_lo_u16_e32 v8, 10, v51
	v_lshrrev_b16_e32 v61, 11, v22
	v_sub_u16_e32 v60, v0, v8
	v_mov_b32_e32 v8, 4
	v_mul_lo_u16_e32 v22, 10, v61
	v_lshlrev_b32_sdwa v18, v8, v60 dst_sel:DWORD dst_unused:UNUSED_PAD src0_sel:DWORD src1_sel:BYTE_0
	v_sub_u16_e32 v62, v37, v22
	v_add_u32_e32 v35, 54, v0
	global_load_dwordx4 v[22:25], v18, s[8:9]
	v_lshlrev_b32_sdwa v18, v8, v62 dst_sel:DWORD dst_unused:UNUSED_PAD src0_sel:DWORD src1_sel:BYTE_0
	global_load_dwordx4 v[44:47], v18, s[8:9]
	v_mul_lo_u16_sdwa v18, v35, s4 dst_sel:DWORD dst_unused:UNUSED_PAD src0_sel:BYTE_0 src1_sel:DWORD
	v_lshrrev_b16_e32 v63, 11, v18
	v_add_u32_e32 v34, 0x51, v0
	v_mul_lo_u16_e32 v18, 10, v63
	v_sub_u16_e32 v64, v35, v18
	v_mul_lo_u16_sdwa v18, v34, s4 dst_sel:DWORD dst_unused:UNUSED_PAD src0_sel:BYTE_0 src1_sel:DWORD
	v_lshrrev_b16_e32 v18, 11, v18
	v_mul_lo_u16_e32 v18, 10, v18
	v_sub_u16_e32 v30, v34, v18
	v_lshlrev_b32_sdwa v18, v8, v30 dst_sel:DWORD dst_unused:UNUSED_PAD src0_sel:DWORD src1_sel:BYTE_0
	global_load_dwordx4 v[52:55], v18, s[8:9]
	v_lshlrev_b32_sdwa v8, v8, v64 dst_sel:DWORD dst_unused:UNUSED_PAD src0_sel:DWORD src1_sel:BYTE_0
	global_load_dwordx4 v[56:59], v8, s[8:9]
	v_mov_b32_e32 v48, 0x3f5db3d7
	v_mov_b32_e32 v49, v11
	s_movk_i32 s4, 0x78
	s_waitcnt lgkmcnt(0)
	s_barrier
	s_waitcnt vmcnt(3)
	v_mul_f32_e32 v39, v12, v23
	v_mul_f32_e32 v18, v32, v23
	;; [unrolled: 1-line block ×4, first 2 shown]
	v_fmac_f32_e32 v39, v32, v22
	v_fma_f32 v42, v12, v22, -v18
	v_fma_f32 v43, v5, v24, -v23
	s_waitcnt vmcnt(2)
	v_mul_f32_e32 v5, v28, v47
	v_mul_f32_e32 v8, v13, v45
	;; [unrolled: 1-line block ×3, first 2 shown]
	v_fmac_f32_e32 v40, v27, v24
	v_mul_f32_e32 v41, v6, v47
	v_fma_f32 v45, v6, v46, -v5
	s_waitcnt vmcnt(1)
	v_mul_f32_e32 v18, v19, v53
	v_mul_f32_e32 v22, v21, v55
	;; [unrolled: 1-line block ×3, first 2 shown]
	s_waitcnt vmcnt(0)
	v_mul_f32_e32 v27, v4, v57
	v_mul_f32_e32 v12, v26, v57
	;; [unrolled: 1-line block ×5, first 2 shown]
	v_fmac_f32_e32 v18, v31, v52
	v_fmac_f32_e32 v22, v38, v54
	;; [unrolled: 1-line block ×3, first 2 shown]
	v_fma_f32 v44, v13, v44, -v25
	v_fmac_f32_e32 v41, v28, v46
	v_fmac_f32_e32 v27, v26, v56
	v_fma_f32 v26, v4, v56, -v12
	v_fma_f32 v28, v7, v58, -v24
	;; [unrolled: 1-line block ×3, first 2 shown]
	v_add_f32_e32 v4, v20, v39
	v_pk_add_f32 v[24:25], v[18:19], v[22:23] neg_lo:[0,1] neg_hi:[0,1]
	v_mul_f32_e32 v33, v7, v59
	v_add_f32_e32 v6, v39, v40
	v_add_f32_e32 v12, v16, v8
	;; [unrolled: 1-line block ×4, first 2 shown]
	v_mov_b32_e32 v5, v18
	v_add_f32_e32 v18, v4, v40
	v_sub_f32_e32 v4, v25, v21
	v_fmac_f32_e32 v33, v29, v58
	v_fmac_f32_e32 v20, -0.5, v6
	v_add_f32_e32 v6, v12, v41
	v_fma_f32 v16, -0.5, v13, v16
	v_fmac_f32_e32 v11, -0.5, v46
	v_pk_mul_f32 v[12:13], v[48:49], v[4:5]
	v_pk_add_f32 v[4:5], v[48:49], v[4:5]
	v_sub_f32_e32 v7, v42, v43
	v_sub_f32_e32 v29, v44, v45
	v_add_f32_e32 v32, v27, v33
	v_mov_b32_e32 v13, v5
	v_mov_b32_e32 v4, v11
	;; [unrolled: 1-line block ×4, first 2 shown]
	v_add_f32_e32 v31, v17, v27
	v_fmac_f32_e32 v17, -0.5, v32
	v_fmamk_f32 v23, v7, 0xbf5db3d7, v20
	v_fmac_f32_e32 v20, 0x3f5db3d7, v7
	v_fmamk_f32 v7, v29, 0xbf5db3d7, v16
	v_fmac_f32_e32 v16, 0x3f5db3d7, v29
	v_pk_add_f32 v[4:5], v[12:13], v[4:5]
	v_mad_u32_u24 v13, v51, s4, 0
	v_lshlrev_b32_sdwa v29, v22, v60 dst_sel:DWORD dst_unused:UNUSED_PAD src0_sel:DWORD src1_sel:BYTE_0
	v_lshlrev_b32_e32 v32, 2, v50
	v_add3_u32 v29, v13, v29, v32
	ds_write2_b32 v29, v18, v23 offset1:10
	ds_write_b32 v29, v20 offset:80
	v_mad_u32_u24 v13, v61, s4, 0
	v_lshlrev_b32_sdwa v18, v22, v62 dst_sel:DWORD dst_unused:UNUSED_PAD src0_sel:DWORD src1_sel:BYTE_0
	v_add_f32_e32 v19, v31, v33
	v_add3_u32 v31, v13, v18, v32
	v_sub_f32_e32 v38, v26, v28
	ds_write2_b32 v31, v6, v7 offset1:10
	ds_write_b32 v31, v16 offset:80
	v_mad_u32_u24 v6, v63, s4, 0
	v_lshlrev_b32_sdwa v7, v22, v64 dst_sel:DWORD dst_unused:UNUSED_PAD src0_sel:DWORD src1_sel:BYTE_0
	v_fmamk_f32 v47, v38, 0xbf5db3d7, v17
	v_add3_u32 v46, v6, v7, v32
	v_fmac_f32_e32 v17, 0x3f5db3d7, v38
	ds_write2_b32 v46, v19, v47 offset1:10
	ds_write_b32 v46, v17 offset:80
                                        ; implicit-def: $vgpr6
	s_and_saveexec_b64 s[4:5], s[2:3]
	s_xor_b64 s[4:5], exec, s[4:5]
; %bb.16:
	v_mov_b32_e32 v6, v5
; %bb.17:
	s_or_saveexec_b64 s[4:5], s[4:5]
	v_sub_f32_e32 v7, v11, v12
	s_xor_b64 exec, exec, s[4:5]
	s_cbranch_execz .LBB0_19
; %bb.18:
	v_mov_b32_e32 v6, 2
	v_lshlrev_b32_sdwa v6, v6, v30 dst_sel:DWORD dst_unused:UNUSED_PAD src0_sel:DWORD src1_sel:BYTE_0
	v_add3_u32 v6, 0, v6, v32
	ds_write2_b32 v6, v5, v7 offset0:240 offset1:250
	ds_write_b32 v6, v4 offset:1040
	v_mov_b32_e32 v6, v5
.LBB0_19:
	s_or_b64 exec, exec, s[4:5]
	s_waitcnt lgkmcnt(0)
	s_barrier
	ds_read_b32 v38, v36
	ds_read2_b32 v[22:23], v1 offset0:90 offset1:117
	ds_read2_b32 v[18:19], v1 offset0:144 offset1:180
	;; [unrolled: 1-line block ×4, first 2 shown]
	s_and_saveexec_b64 s[4:5], s[2:3]
	s_xor_b64 s[4:5], exec, s[4:5]
; %bb.20:
	v_mov_b32_e32 v5, v6
; %bb.21:
	s_andn2_saveexec_b64 s[4:5], s[4:5]
	s_cbranch_execz .LBB0_23
; %bb.22:
	ds_read2_b32 v[6:7], v1 offset0:81 offset1:171
	ds_read_b32 v4, v1 offset:1044
	s_waitcnt lgkmcnt(1)
	v_mov_b32_e32 v5, v6
.LBB0_23:
	s_or_b64 exec, exec, s[4:5]
	v_add_f32_e32 v20, v42, v43
	v_add_f32_e32 v11, v10, v42
	v_fmac_f32_e32 v10, -0.5, v20
	v_sub_f32_e32 v20, v39, v40
	v_fmamk_f32 v39, v20, 0x3f5db3d7, v10
	v_fmac_f32_e32 v10, 0xbf5db3d7, v20
	v_add_f32_e32 v20, v14, v44
	v_add_f32_e32 v42, v20, v45
	v_add_f32_e32 v20, v44, v45
	v_fma_f32 v14, -0.5, v20, v14
	v_sub_f32_e32 v8, v8, v41
	v_add_f32_e32 v11, v11, v43
	v_fmamk_f32 v43, v8, 0x3f5db3d7, v14
	v_fmac_f32_e32 v14, 0xbf5db3d7, v8
	v_add_f32_e32 v8, v15, v26
	v_add_f32_e32 v44, v8, v28
	v_add_f32_e32 v8, v26, v28
	v_fmac_f32_e32 v15, -0.5, v8
	v_sub_f32_e32 v8, v27, v33
	v_fmamk_f32 v28, v8, 0x3f5db3d7, v15
	v_fmac_f32_e32 v15, 0xbf5db3d7, v8
	v_mov_b32_e32 v8, 0x3f5db3d7
	v_pk_mul_f32 v[26:27], v[8:9], v[24:25]
	v_pk_add_f32 v[40:41], v[8:9], v[24:25]
	v_add_f32_e32 v8, v25, v21
	v_fmac_f32_e32 v9, -0.5, v8
	v_mov_b32_e32 v27, v41
	v_mov_b32_e32 v20, v9
	v_pk_add_f32 v[24:25], v[26:27], v[20:21]
	s_waitcnt lgkmcnt(0)
	s_barrier
	ds_write2_b32 v29, v11, v39 offset1:10
	ds_write_b32 v29, v10 offset:80
	ds_write2_b32 v31, v42, v43 offset1:10
	ds_write_b32 v31, v14 offset:80
	;; [unrolled: 2-line block ×3, first 2 shown]
                                        ; implicit-def: $vgpr10
	s_and_saveexec_b64 s[4:5], s[2:3]
	s_xor_b64 s[4:5], exec, s[4:5]
; %bb.24:
	v_mov_b32_e32 v10, v25
                                        ; implicit-def: $vgpr30
; %bb.25:
	s_or_saveexec_b64 s[4:5], s[4:5]
	v_sub_f32_e32 v40, v9, v26
	s_xor_b64 exec, exec, s[4:5]
	s_cbranch_execz .LBB0_27
; %bb.26:
	v_mov_b32_e32 v8, 2
	v_lshlrev_b32_sdwa v8, v8, v30 dst_sel:DWORD dst_unused:UNUSED_PAD src0_sel:DWORD src1_sel:BYTE_0
	v_add3_u32 v8, 0, v8, v32
	v_mov_b32_e32 v10, v25
	ds_write2_b32 v8, v25, v24 offset0:240 offset1:250
	ds_write_b32 v8, v40 offset:1040
.LBB0_27:
	s_or_b64 exec, exec, s[4:5]
	s_waitcnt lgkmcnt(0)
	s_barrier
	ds_read_b32 v33, v36
	ds_read2_b32 v[30:31], v1 offset0:90 offset1:117
	ds_read2_b32 v[28:29], v1 offset0:144 offset1:180
	;; [unrolled: 1-line block ×4, first 2 shown]
                                        ; implicit-def: $vgpr20_vgpr21
	s_and_saveexec_b64 s[4:5], s[2:3]
	s_xor_b64 s[4:5], exec, s[4:5]
; %bb.28:
	v_mov_b32_e32 v25, v10
	v_mov_b64_e32 v[20:21], v[24:25]
; %bb.29:
	s_andn2_saveexec_b64 s[4:5], s[4:5]
	s_cbranch_execz .LBB0_31
; %bb.30:
	ds_read2_b32 v[10:11], v1 offset0:81 offset1:171
	ds_read_b32 v40, v1 offset:1044
	s_waitcnt lgkmcnt(1)
	v_mov_b32_e32 v20, v11
	v_mov_b32_e32 v21, v10
	;; [unrolled: 1-line block ×3, first 2 shown]
.LBB0_31:
	s_or_b64 exec, exec, s[4:5]
	v_add_u32_e32 v11, -3, v0
	v_cmp_gt_u32_e64 s[4:5], 3, v0
	v_lshlrev_b32_e32 v42, 1, v0
	v_mov_b32_e32 v43, 0
	v_cndmask_b32_e64 v62, v11, v37, s[4:5]
	s_movk_i32 s4, 0x89
	v_mul_lo_u16_sdwa v25, v35, s4 dst_sel:DWORD dst_unused:UNUSED_PAD src0_sel:BYTE_0 src1_sel:DWORD
	v_mul_lo_u16_sdwa v39, v34, s4 dst_sel:DWORD dst_unused:UNUSED_PAD src0_sel:BYTE_0 src1_sel:DWORD
	v_lshrrev_b16_e32 v63, 12, v25
	v_lshrrev_b16_e32 v25, 12, v39
	v_mul_lo_u16_e32 v39, 30, v63
	v_lshl_add_u64 v[8:9], v[42:43], 3, s[8:9]
	v_lshlrev_b32_e32 v42, 1, v62
	v_mov_b32_e32 v11, 4
	v_sub_u16_e32 v64, v35, v39
	global_load_dwordx4 v[44:47], v[8:9], off offset:160
	v_lshl_add_u64 v[42:43], v[42:43], 3, s[8:9]
	v_lshlrev_b32_sdwa v39, v11, v64 dst_sel:DWORD dst_unused:UNUSED_PAD src0_sel:DWORD src1_sel:BYTE_0
	v_mul_lo_u16_e32 v25, 30, v25
	global_load_dwordx4 v[48:51], v[42:43], off offset:160
	global_load_dwordx4 v[52:55], v39, s[8:9] offset:160
	v_sub_u16_e32 v39, v34, v25
	v_lshlrev_b32_sdwa v11, v11, v39 dst_sel:DWORD dst_unused:UNUSED_PAD src0_sel:DWORD src1_sel:BYTE_0
	global_load_dwordx4 v[56:59], v11, s[8:9] offset:160
	s_waitcnt lgkmcnt(0)
	s_barrier
	v_mov_b32_e32 v60, 0x3f5db3d7
	v_mov_b32_e32 v61, v5
	v_cmp_lt_u32_e64 s[4:5], 2, v0
	s_movk_i32 s6, 0x168
	s_waitcnt vmcnt(3)
	v_mul_f32_e32 v41, v30, v45
	v_mul_f32_e32 v11, v22, v45
	;; [unrolled: 1-line block ×4, first 2 shown]
	v_fmac_f32_e32 v41, v22, v44
	v_fma_f32 v45, v30, v44, -v11
	v_fmac_f32_e32 v42, v19, v46
	s_waitcnt vmcnt(2)
	v_mul_f32_e32 v30, v31, v49
	v_mul_f32_e32 v43, v26, v51
	v_fma_f32 v46, v29, v46, -v25
	v_mul_f32_e32 v11, v23, v49
	v_mul_f32_e32 v19, v16, v51
	v_add_f32_e32 v22, v38, v41
	v_fmac_f32_e32 v30, v23, v48
	v_add_f32_e32 v23, v41, v42
	v_fmac_f32_e32 v43, v16, v50
	v_sub_f32_e32 v29, v45, v46
	v_fma_f32 v47, v31, v48, -v11
	v_fma_f32 v48, v26, v50, -v19
	v_add_f32_e32 v16, v22, v42
	v_fmac_f32_e32 v38, -0.5, v23
	s_waitcnt vmcnt(1)
	v_mul_f32_e32 v31, v28, v53
	v_mul_f32_e32 v11, v18, v53
	s_waitcnt vmcnt(0)
	v_mul_f32_e32 v22, v24, v57
	v_mul_f32_e32 v23, v24, v56
	;; [unrolled: 1-line block ×3, first 2 shown]
	v_add_f32_e32 v51, v30, v43
	v_mul_f32_e32 v44, v27, v55
	v_mul_f32_e32 v19, v17, v55
	;; [unrolled: 1-line block ×3, first 2 shown]
	v_fmamk_f32 v26, v29, 0xbf5db3d7, v38
	v_fmac_f32_e32 v38, 0x3f5db3d7, v29
	v_mul_f32_e32 v29, v4, v59
	v_fmac_f32_e32 v31, v18, v52
	v_add_f32_e32 v18, v12, v30
	v_fma_f32 v49, v28, v52, -v11
	v_sub_f32_e32 v28, v47, v48
	v_fmac_f32_e32 v22, v7, v56
	v_fmac_f32_e32 v24, v4, v58
	v_fma_f32 v12, -0.5, v51, v12
	v_fmac_f32_e32 v44, v17, v54
	v_fma_f32 v50, v27, v54, -v19
	v_add_f32_e32 v27, v18, v43
	v_fma_f32 v11, v40, v58, -v29
	ds_write2_b32 v1, v16, v26 offset1:30
	v_fmamk_f32 v26, v28, 0xbf5db3d7, v12
	v_fmac_f32_e32 v12, 0x3f5db3d7, v28
	v_add_f32_e32 v18, v22, v24
	v_pk_add_f32 v[28:29], v[22:23], v[24:25] neg_lo:[0,1] neg_hi:[0,1]
	v_add_f32_e32 v16, v13, v31
	v_add_f32_e32 v17, v31, v44
	v_mov_b32_e32 v19, v22
	v_fmac_f32_e32 v6, -0.5, v18
	v_sub_f32_e32 v18, v29, v11
	v_add_f32_e32 v22, v16, v44
	v_fmac_f32_e32 v13, -0.5, v17
	v_pk_mul_f32 v[16:17], v[60:61], v[18:19]
	v_pk_add_f32 v[4:5], v[4:5], v[18:19]
	v_mov_b32_e32 v7, v24
	v_mov_b32_e32 v17, v5
	v_pk_add_f32 v[4:5], v[16:17], v[6:7]
	v_mov_b32_e32 v7, 0x168
	v_cndmask_b32_e64 v7, 0, v7, s[4:5]
	v_add_u32_e32 v7, 0, v7
	v_lshlrev_b32_e32 v17, 2, v62
	v_add3_u32 v17, v7, v17, v32
	ds_write_b32 v1, v38 offset:240
	ds_write2_b32 v17, v27, v26 offset1:30
	ds_write_b32 v17, v12 offset:240
	v_mov_b32_e32 v12, 2
	v_sub_f32_e32 v40, v49, v50
	v_mad_u32_u24 v7, v63, s6, 0
	v_lshlrev_b32_sdwa v12, v12, v64 dst_sel:DWORD dst_unused:UNUSED_PAD src0_sel:DWORD src1_sel:BYTE_0
	v_fmamk_f32 v23, v40, 0xbf5db3d7, v13
	v_add3_u32 v38, v7, v12, v32
	v_fmac_f32_e32 v13, 0x3f5db3d7, v40
	ds_write2_b32 v38, v22, v23 offset1:30
	ds_write_b32 v38, v13 offset:240
	s_and_saveexec_b64 s[4:5], s[2:3]
	s_xor_b64 s[4:5], exec, s[4:5]
	s_or_saveexec_b64 s[4:5], s[4:5]
	v_sub_f32_e32 v7, v6, v16
	s_xor_b64 exec, exec, s[4:5]
	s_cbranch_execz .LBB0_33
; %bb.32:
	v_mov_b32_e32 v6, 2
	v_lshlrev_b32_sdwa v6, v6, v39 dst_sel:DWORD dst_unused:UNUSED_PAD src0_sel:DWORD src1_sel:BYTE_0
	v_add3_u32 v6, 0, v6, v32
	ds_write2_b32 v6, v5, v7 offset0:180 offset1:210
	ds_write_b32 v6, v4 offset:960
.LBB0_33:
	s_or_b64 exec, exec, s[4:5]
	s_waitcnt lgkmcnt(0)
	s_barrier
	ds_read_b32 v16, v36
	ds_read2_b32 v[24:25], v1 offset0:90 offset1:117
	ds_read2_b32 v[22:23], v1 offset0:144 offset1:180
	;; [unrolled: 1-line block ×4, first 2 shown]
	s_and_saveexec_b64 s[4:5], s[2:3]
	s_xor_b64 s[4:5], exec, s[4:5]
	s_andn2_saveexec_b64 s[4:5], s[4:5]
	s_cbranch_execz .LBB0_35
; %bb.34:
	ds_read2_b32 v[6:7], v1 offset0:81 offset1:171
	ds_read_b32 v4, v1 offset:1044
	s_waitcnt lgkmcnt(1)
	v_mov_b32_e32 v5, v6
.LBB0_35:
	s_or_b64 exec, exec, s[4:5]
	v_add_f32_e32 v12, v45, v46
	v_add_f32_e32 v6, v33, v45
	v_fmac_f32_e32 v33, -0.5, v12
	v_sub_f32_e32 v12, v41, v42
	v_fmamk_f32 v40, v12, 0x3f5db3d7, v33
	v_fmac_f32_e32 v33, 0xbf5db3d7, v12
	v_add_f32_e32 v12, v14, v47
	v_add_f32_e32 v41, v12, v48
	;; [unrolled: 1-line block ×3, first 2 shown]
	v_fma_f32 v14, -0.5, v12, v14
	v_sub_f32_e32 v12, v30, v43
	v_fmamk_f32 v42, v12, 0x3f5db3d7, v14
	v_fmac_f32_e32 v14, 0xbf5db3d7, v12
	v_add_f32_e32 v12, v15, v49
	v_add_f32_e32 v43, v12, v50
	;; [unrolled: 1-line block ×3, first 2 shown]
	v_fmac_f32_e32 v15, -0.5, v12
	v_sub_f32_e32 v12, v31, v44
	v_fmamk_f32 v44, v12, 0x3f5db3d7, v15
	v_fmac_f32_e32 v15, 0xbf5db3d7, v12
	v_mov_b32_e32 v12, 0x3f5db3d7
	v_mov_b32_e32 v13, v21
	v_pk_mul_f32 v[30:31], v[12:13], v[28:29]
	v_pk_add_f32 v[12:13], v[20:21], v[28:29]
	v_add_f32_e32 v6, v6, v46
	v_add_f32_e32 v12, v29, v11
	v_mov_b32_e32 v31, v13
	v_fmac_f32_e32 v10, -0.5, v12
	v_pk_add_f32 v[12:13], v[30:31], v[10:11]
	s_waitcnt lgkmcnt(0)
	s_barrier
	ds_write2_b32 v1, v6, v40 offset1:30
	ds_write_b32 v1, v33 offset:240
	ds_write2_b32 v17, v41, v42 offset1:30
	ds_write_b32 v17, v14 offset:240
	;; [unrolled: 2-line block ×3, first 2 shown]
	s_and_saveexec_b64 s[4:5], s[2:3]
	s_xor_b64 s[4:5], exec, s[4:5]
; %bb.36:
                                        ; implicit-def: $vgpr39
                                        ; implicit-def: $vgpr32
; %bb.37:
	s_or_saveexec_b64 s[4:5], s[4:5]
	v_sub_f32_e32 v6, v10, v30
	s_xor_b64 exec, exec, s[4:5]
	s_cbranch_execz .LBB0_39
; %bb.38:
	v_mov_b32_e32 v10, 2
	v_lshlrev_b32_sdwa v10, v10, v39 dst_sel:DWORD dst_unused:UNUSED_PAD src0_sel:DWORD src1_sel:BYTE_0
	v_add3_u32 v10, 0, v10, v32
	ds_write2_b32 v10, v13, v12 offset0:180 offset1:210
	ds_write_b32 v10, v6 offset:960
.LBB0_39:
	s_or_b64 exec, exec, s[4:5]
	s_waitcnt lgkmcnt(0)
	s_barrier
	ds_read_b32 v17, v36
	ds_read2_b32 v[28:29], v1 offset0:90 offset1:117
	ds_read2_b32 v[20:21], v1 offset0:144 offset1:180
	;; [unrolled: 1-line block ×4, first 2 shown]
	s_and_saveexec_b64 s[4:5], s[2:3]
	s_xor_b64 s[2:3], exec, s[4:5]
	s_cbranch_execnz .LBB0_43
; %bb.40:
	s_andn2_saveexec_b64 s[2:3], s[2:3]
	s_cbranch_execnz .LBB0_44
.LBB0_41:
	s_or_b64 exec, exec, s[2:3]
	s_and_saveexec_b64 s[2:3], vcc
	s_cbranch_execnz .LBB0_45
.LBB0_42:
	s_endpgm
.LBB0_43:
                                        ; implicit-def: $vgpr1
	s_andn2_saveexec_b64 s[2:3], s[2:3]
	s_cbranch_execz .LBB0_41
.LBB0_44:
	ds_read2_b32 v[30:31], v1 offset0:81 offset1:171
	ds_read_b32 v6, v1 offset:1044
	s_waitcnt lgkmcnt(1)
	v_mov_b32_e32 v12, v31
	v_mov_b32_e32 v13, v30
	s_or_b64 exec, exec, s[2:3]
	s_and_saveexec_b64 s[2:3], vcc
	s_cbranch_execz .LBB0_42
.LBB0_45:
	global_load_dwordx4 v[30:33], v[8:9], off offset:640
	v_lshlrev_b32_e32 v8, 1, v35
	v_mov_b32_e32 v9, 0
	v_lshl_add_u64 v[38:39], v[8:9], 3, s[8:9]
	v_lshlrev_b32_e32 v8, 1, v37
	v_lshl_add_u64 v[36:37], v[8:9], 3, s[8:9]
	global_load_dwordx4 v[38:41], v[38:39], off offset:640
	v_mov_b32_e32 v46, v23
	global_load_dwordx4 v[42:45], v[36:37], off offset:640
	s_waitcnt lgkmcnt(2)
	v_mov_b32_e32 v36, v21
	v_mov_b32_e32 v48, v23
	;; [unrolled: 1-line block ×6, first 2 shown]
	s_waitcnt lgkmcnt(0)
	v_mov_b32_e32 v26, v15
	s_mov_b32 s2, 0x3f5db3d7
	v_mov_b32_e32 v57, v10
	s_mov_b32 s3, 0xb60b60b7
	v_mov_b32_e32 v58, v19
	v_mov_b32_e32 v60, v19
	;; [unrolled: 1-line block ×4, first 2 shown]
	v_lshrrev_b32_e32 v8, 1, v35
	v_lshl_add_u64 v[2:3], v[0:1], 3, v[2:3]
	v_mul_hi_u32 v8, v8, s3
	v_lshrrev_b32_e32 v1, 5, v8
	v_mul_u32_u24_e32 v8, 0xb4, v1
	v_lshl_add_u64 v[62:63], v[8:9], 3, v[2:3]
	s_waitcnt vmcnt(2)
	v_pk_mul_f32 v[28:29], v[28:29], v[30:31] op_sel_hi:[0,1]
	v_pk_mul_f32 v[36:37], v[36:37], v[32:33] op_sel_hi:[0,1]
	v_pk_fma_f32 v[64:65], v[24:25], v[30:31], v[28:29] op_sel:[0,0,1] op_sel_hi:[1,1,0]
	v_pk_fma_f32 v[24:25], v[24:25], v[30:31], v[28:29] op_sel:[0,0,1] op_sel_hi:[0,1,0] neg_lo:[1,0,0] neg_hi:[1,0,0]
	v_pk_fma_f32 v[28:29], v[46:47], v[32:33], v[36:37] op_sel:[0,0,1] op_sel_hi:[1,1,0]
	v_pk_fma_f32 v[30:31], v[48:49], v[32:33], v[36:37] op_sel:[0,0,1] op_sel_hi:[0,1,0] neg_lo:[1,0,0] neg_hi:[1,0,0]
	v_mov_b32_e32 v65, v25
	v_mov_b32_e32 v29, v31
	s_waitcnt vmcnt(1)
	v_pk_mul_f32 v[20:21], v[20:21], v[38:39] op_sel_hi:[0,1]
	v_pk_mul_f32 v[24:25], v[26:27], v[40:41] op_sel_hi:[0,1]
	v_pk_add_f32 v[26:27], v[16:17], v[64:65]
	v_pk_add_f32 v[30:31], v[64:65], v[28:29]
	v_pk_add_f32 v[32:33], v[64:65], v[28:29] neg_lo:[0,1] neg_hi:[0,1]
	s_waitcnt vmcnt(0)
	v_pk_mul_f32 v[36:37], v[50:51], v[42:43] op_sel_hi:[0,1]
	v_pk_mul_f32 v[14:15], v[14:15], v[44:45] op_sel_hi:[0,1]
	v_pk_fma_f32 v[46:47], v[22:23], v[38:39], v[20:21] op_sel:[0,0,1] op_sel_hi:[1,1,0]
	v_pk_fma_f32 v[20:21], v[22:23], v[38:39], v[20:21] op_sel:[0,0,1] op_sel_hi:[0,1,0] neg_lo:[1,0,0] neg_hi:[1,0,0]
	v_pk_fma_f32 v[22:23], v[58:59], v[40:41], v[24:25] op_sel:[0,0,1] op_sel_hi:[1,1,0]
	v_pk_fma_f32 v[24:25], v[60:61], v[40:41], v[24:25] op_sel:[0,0,1] op_sel_hi:[0,1,0] neg_lo:[1,0,0] neg_hi:[1,0,0]
	v_pk_add_f32 v[26:27], v[26:27], v[28:29]
	v_pk_fma_f32 v[16:17], v[30:31], 0.5, v[16:17] op_sel_hi:[1,0,1] neg_lo:[1,0,0] neg_hi:[1,0,0]
	v_pk_mul_f32 v[28:29], v[32:33], s[2:3] op_sel_hi:[1,0]
	v_pk_fma_f32 v[30:31], v[52:53], v[42:43], v[36:37] op_sel:[0,0,1] op_sel_hi:[1,1,0]
	v_pk_fma_f32 v[32:33], v[54:55], v[42:43], v[36:37] op_sel:[0,0,1] op_sel_hi:[0,1,0] neg_lo:[1,0,0] neg_hi:[1,0,0]
	v_pk_fma_f32 v[36:37], v[18:19], v[44:45], v[14:15] op_sel:[0,0,1] op_sel_hi:[1,1,0]
	v_pk_fma_f32 v[14:15], v[18:19], v[44:45], v[14:15] op_sel:[0,0,1] op_sel_hi:[0,1,0] neg_lo:[1,0,0] neg_hi:[1,0,0]
	v_mov_b32_e32 v47, v21
	v_mov_b32_e32 v23, v25
	v_pk_add_f32 v[18:19], v[16:17], v[28:29] op_sel:[0,1] op_sel_hi:[1,0] neg_lo:[0,1] neg_hi:[0,1]
	v_pk_add_f32 v[16:17], v[16:17], v[28:29] op_sel:[0,1] op_sel_hi:[1,0]
	v_mov_b32_e32 v31, v33
	v_mov_b32_e32 v37, v15
	global_store_dwordx2 v[2:3], v[26:27], off
	v_pk_add_f32 v[14:15], v[10:11], v[46:47]
	v_pk_add_f32 v[20:21], v[46:47], v[22:23]
	v_pk_add_f32 v[24:25], v[46:47], v[22:23] neg_lo:[0,1] neg_hi:[0,1]
	v_mov_b32_e32 v26, v18
	v_mov_b32_e32 v27, v17
	;; [unrolled: 1-line block ×3, first 2 shown]
	v_pk_add_f32 v[18:19], v[56:57], v[30:31]
	v_pk_add_f32 v[28:29], v[30:31], v[36:37]
	v_pk_add_f32 v[30:31], v[30:31], v[36:37] neg_lo:[0,1] neg_hi:[0,1]
	v_pk_add_f32 v[14:15], v[14:15], v[22:23]
	v_pk_fma_f32 v[10:11], v[20:21], 0.5, v[10:11] op_sel_hi:[1,0,1] neg_lo:[1,0,0] neg_hi:[1,0,0]
	v_pk_mul_f32 v[20:21], v[24:25], s[2:3] op_sel_hi:[1,0]
	global_store_dwordx2 v[2:3], v[26:27], off offset:720
	global_store_dwordx2 v[2:3], v[16:17], off offset:1440
	v_pk_add_f32 v[16:17], v[18:19], v[36:37]
	v_pk_fma_f32 v[18:19], v[28:29], 0.5, v[56:57] op_sel_hi:[1,0,1] neg_lo:[1,0,0] neg_hi:[1,0,0]
	v_pk_mul_f32 v[22:23], v[30:31], s[2:3] op_sel_hi:[1,0]
	v_pk_add_f32 v[24:25], v[10:11], v[20:21] op_sel:[0,1] op_sel_hi:[1,0] neg_lo:[0,1] neg_hi:[0,1]
	v_pk_add_f32 v[10:11], v[10:11], v[20:21] op_sel:[0,1] op_sel_hi:[1,0]
	global_store_dwordx2 v[2:3], v[16:17], off offset:216
	v_pk_add_f32 v[16:17], v[18:19], v[22:23] op_sel:[0,1] op_sel_hi:[1,0] neg_lo:[0,1] neg_hi:[0,1]
	v_pk_add_f32 v[18:19], v[18:19], v[22:23] op_sel:[0,1] op_sel_hi:[1,0]
	v_mov_b32_e32 v20, v24
	v_mov_b32_e32 v22, v16
	;; [unrolled: 1-line block ×6, first 2 shown]
	global_store_dwordx2 v[2:3], v[22:23], off offset:936
	global_store_dwordx2 v[2:3], v[18:19], off offset:1656
	;; [unrolled: 1-line block ×5, first 2 shown]
	s_and_b64 exec, exec, s[0:1]
	s_cbranch_execz .LBB0_42
; %bb.46:
	v_add_u32_e32 v0, -9, v0
	v_cndmask_b32_e64 v0, v0, v34, s[0:1]
	v_lshlrev_b32_e32 v8, 1, v0
	v_lshl_add_u64 v[0:1], v[8:9], 3, s[8:9]
	global_load_dwordx4 v[8:11], v[0:1], off offset:640
	v_mov_b32_e32 v0, v7
	v_mov_b32_e32 v14, v7
	s_waitcnt vmcnt(0)
	v_pk_mul_f32 v[16:17], v[12:13], v[8:9] op_sel_hi:[0,1]
	v_pk_mul_f32 v[6:7], v[6:7], v[10:11] op_sel_hi:[0,1]
	v_mov_b32_e32 v12, v5
	v_pk_fma_f32 v[0:1], v[0:1], v[8:9], v[16:17] op_sel:[0,0,1] op_sel_hi:[1,1,0]
	v_pk_fma_f32 v[8:9], v[14:15], v[8:9], v[16:17] op_sel:[0,0,1] op_sel_hi:[0,1,0] neg_lo:[1,0,0] neg_hi:[1,0,0]
	v_pk_fma_f32 v[14:15], v[4:5], v[10:11], v[6:7] op_sel:[0,0,1] op_sel_hi:[1,1,0]
	v_pk_fma_f32 v[4:5], v[4:5], v[10:11], v[6:7] op_sel:[0,0,1] op_sel_hi:[0,1,0] neg_lo:[1,0,0] neg_hi:[1,0,0]
	v_mov_b32_e32 v1, v9
	v_mov_b32_e32 v15, v5
	v_pk_add_f32 v[4:5], v[12:13], v[0:1]
	v_pk_add_f32 v[6:7], v[0:1], v[14:15]
	v_pk_add_f32 v[0:1], v[0:1], v[14:15] neg_lo:[0,1] neg_hi:[0,1]
	v_pk_fma_f32 v[6:7], -0.5, v[6:7], v[12:13] op_sel_hi:[0,1,1]
	v_pk_mul_f32 v[0:1], v[0:1], s[2:3] op_sel_hi:[1,0]
	v_pk_add_f32 v[4:5], v[4:5], v[14:15]
	v_pk_add_f32 v[8:9], v[6:7], v[0:1] op_sel:[0,1] op_sel_hi:[1,0] neg_lo:[0,1] neg_hi:[0,1]
	v_pk_add_f32 v[0:1], v[6:7], v[0:1] op_sel:[0,1] op_sel_hi:[1,0]
	global_store_dwordx2 v[2:3], v[4:5], off offset:648
	v_mov_b32_e32 v4, v8
	v_mov_b32_e32 v5, v1
	;; [unrolled: 1-line block ×3, first 2 shown]
	global_store_dwordx2 v[2:3], v[4:5], off offset:1368
	global_store_dwordx2 v[2:3], v[0:1], off offset:2088
	s_endpgm
	.section	.rodata,"a",@progbits
	.p2align	6, 0x0
	.amdhsa_kernel fft_rtc_back_len270_factors_10_3_3_3_wgs_108_tpt_27_halfLds_sp_ip_CI_unitstride_sbrr_dirReg
		.amdhsa_group_segment_fixed_size 0
		.amdhsa_private_segment_fixed_size 0
		.amdhsa_kernarg_size 88
		.amdhsa_user_sgpr_count 2
		.amdhsa_user_sgpr_dispatch_ptr 0
		.amdhsa_user_sgpr_queue_ptr 0
		.amdhsa_user_sgpr_kernarg_segment_ptr 1
		.amdhsa_user_sgpr_dispatch_id 0
		.amdhsa_user_sgpr_kernarg_preload_length 0
		.amdhsa_user_sgpr_kernarg_preload_offset 0
		.amdhsa_user_sgpr_private_segment_size 0
		.amdhsa_uses_dynamic_stack 0
		.amdhsa_enable_private_segment 0
		.amdhsa_system_sgpr_workgroup_id_x 1
		.amdhsa_system_sgpr_workgroup_id_y 0
		.amdhsa_system_sgpr_workgroup_id_z 0
		.amdhsa_system_sgpr_workgroup_info 0
		.amdhsa_system_vgpr_workitem_id 0
		.amdhsa_next_free_vgpr 66
		.amdhsa_next_free_sgpr 22
		.amdhsa_accum_offset 68
		.amdhsa_reserve_vcc 1
		.amdhsa_float_round_mode_32 0
		.amdhsa_float_round_mode_16_64 0
		.amdhsa_float_denorm_mode_32 3
		.amdhsa_float_denorm_mode_16_64 3
		.amdhsa_dx10_clamp 1
		.amdhsa_ieee_mode 1
		.amdhsa_fp16_overflow 0
		.amdhsa_tg_split 0
		.amdhsa_exception_fp_ieee_invalid_op 0
		.amdhsa_exception_fp_denorm_src 0
		.amdhsa_exception_fp_ieee_div_zero 0
		.amdhsa_exception_fp_ieee_overflow 0
		.amdhsa_exception_fp_ieee_underflow 0
		.amdhsa_exception_fp_ieee_inexact 0
		.amdhsa_exception_int_div_zero 0
	.end_amdhsa_kernel
	.text
.Lfunc_end0:
	.size	fft_rtc_back_len270_factors_10_3_3_3_wgs_108_tpt_27_halfLds_sp_ip_CI_unitstride_sbrr_dirReg, .Lfunc_end0-fft_rtc_back_len270_factors_10_3_3_3_wgs_108_tpt_27_halfLds_sp_ip_CI_unitstride_sbrr_dirReg
                                        ; -- End function
	.section	.AMDGPU.csdata,"",@progbits
; Kernel info:
; codeLenInByte = 6180
; NumSgprs: 28
; NumVgprs: 66
; NumAgprs: 0
; TotalNumVgprs: 66
; ScratchSize: 0
; MemoryBound: 0
; FloatMode: 240
; IeeeMode: 1
; LDSByteSize: 0 bytes/workgroup (compile time only)
; SGPRBlocks: 3
; VGPRBlocks: 8
; NumSGPRsForWavesPerEU: 28
; NumVGPRsForWavesPerEU: 66
; AccumOffset: 68
; Occupancy: 7
; WaveLimiterHint : 1
; COMPUTE_PGM_RSRC2:SCRATCH_EN: 0
; COMPUTE_PGM_RSRC2:USER_SGPR: 2
; COMPUTE_PGM_RSRC2:TRAP_HANDLER: 0
; COMPUTE_PGM_RSRC2:TGID_X_EN: 1
; COMPUTE_PGM_RSRC2:TGID_Y_EN: 0
; COMPUTE_PGM_RSRC2:TGID_Z_EN: 0
; COMPUTE_PGM_RSRC2:TIDIG_COMP_CNT: 0
; COMPUTE_PGM_RSRC3_GFX90A:ACCUM_OFFSET: 16
; COMPUTE_PGM_RSRC3_GFX90A:TG_SPLIT: 0
	.text
	.p2alignl 6, 3212836864
	.fill 256, 4, 3212836864
	.type	__hip_cuid_95c5d44fa2691d99,@object ; @__hip_cuid_95c5d44fa2691d99
	.section	.bss,"aw",@nobits
	.globl	__hip_cuid_95c5d44fa2691d99
__hip_cuid_95c5d44fa2691d99:
	.byte	0                               ; 0x0
	.size	__hip_cuid_95c5d44fa2691d99, 1

	.ident	"AMD clang version 19.0.0git (https://github.com/RadeonOpenCompute/llvm-project roc-6.4.0 25133 c7fe45cf4b819c5991fe208aaa96edf142730f1d)"
	.section	".note.GNU-stack","",@progbits
	.addrsig
	.addrsig_sym __hip_cuid_95c5d44fa2691d99
	.amdgpu_metadata
---
amdhsa.kernels:
  - .agpr_count:     0
    .args:
      - .actual_access:  read_only
        .address_space:  global
        .offset:         0
        .size:           8
        .value_kind:     global_buffer
      - .offset:         8
        .size:           8
        .value_kind:     by_value
      - .actual_access:  read_only
        .address_space:  global
        .offset:         16
        .size:           8
        .value_kind:     global_buffer
      - .actual_access:  read_only
        .address_space:  global
        .offset:         24
        .size:           8
        .value_kind:     global_buffer
      - .offset:         32
        .size:           8
        .value_kind:     by_value
      - .actual_access:  read_only
        .address_space:  global
        .offset:         40
        .size:           8
        .value_kind:     global_buffer
      - .actual_access:  read_only
        .address_space:  global
        .offset:         48
        .size:           8
        .value_kind:     global_buffer
      - .offset:         56
        .size:           4
        .value_kind:     by_value
      - .actual_access:  read_only
        .address_space:  global
        .offset:         64
        .size:           8
        .value_kind:     global_buffer
      - .actual_access:  read_only
        .address_space:  global
        .offset:         72
        .size:           8
        .value_kind:     global_buffer
      - .address_space:  global
        .offset:         80
        .size:           8
        .value_kind:     global_buffer
    .group_segment_fixed_size: 0
    .kernarg_segment_align: 8
    .kernarg_segment_size: 88
    .language:       OpenCL C
    .language_version:
      - 2
      - 0
    .max_flat_workgroup_size: 108
    .name:           fft_rtc_back_len270_factors_10_3_3_3_wgs_108_tpt_27_halfLds_sp_ip_CI_unitstride_sbrr_dirReg
    .private_segment_fixed_size: 0
    .sgpr_count:     28
    .sgpr_spill_count: 0
    .symbol:         fft_rtc_back_len270_factors_10_3_3_3_wgs_108_tpt_27_halfLds_sp_ip_CI_unitstride_sbrr_dirReg.kd
    .uniform_work_group_size: 1
    .uses_dynamic_stack: false
    .vgpr_count:     66
    .vgpr_spill_count: 0
    .wavefront_size: 64
amdhsa.target:   amdgcn-amd-amdhsa--gfx950
amdhsa.version:
  - 1
  - 2
...

	.end_amdgpu_metadata
